;; amdgpu-corpus repo=zjin-lcf/HeCBench kind=compiled arch=gfx1250 opt=O3
	.amdgcn_target "amdgcn-amd-amdhsa--gfx1250"
	.amdhsa_code_object_version 6
	.text
	.protected	_Z17scatterAdd_kernelPKiPKfPfiii ; -- Begin function _Z17scatterAdd_kernelPKiPKfPfiii
	.globl	_Z17scatterAdd_kernelPKiPKfPfiii
	.p2align	8
	.type	_Z17scatterAdd_kernelPKiPKfPfiii,@function
_Z17scatterAdd_kernelPKiPKfPfiii:       ; @_Z17scatterAdd_kernelPKiPKfPfiii
; %bb.0:
	s_load_b96 s[8:10], s[0:1], 0x18
	v_bfe_u32 v9, v0, 10, 10
	v_and_b32_e32 v6, 0x3ff, v0
	s_mov_b32 s12, 0
	s_delay_alu instid0(VALU_DEP_2) | instskip(NEXT) | instid1(VALU_DEP_1)
	v_lshlrev_b32_e32 v7, 5, v9
	v_add_nc_u32_e32 v8, v7, v6
	s_wait_kmcnt 0x0
	s_mul_i32 s9, s10, s9
	s_delay_alu instid0(SALU_CYCLE_1)
	s_cmp_gt_i32 s9, 0
	s_cselect_b32 s11, -1, 0
	s_cmp_lt_i32 s9, 1
	s_cbranch_scc1 .LBB0_35
; %bb.1:
	s_cmp_lt_u32 s9, 0x201
	s_cbranch_scc1 .LBB0_21
; %bb.2:
	s_add_co_i32 s2, s9, -1
	s_delay_alu instid0(SALU_CYCLE_1) | instskip(NEXT) | instid1(SALU_CYCLE_1)
	s_lshr_b32 s3, s2, 9
	s_add_co_i32 s2, s3, -1
	s_delay_alu instid0(SALU_CYCLE_1) | instskip(NEXT) | instid1(SALU_CYCLE_1)
	s_lshr_b32 s6, s2, 1
	s_add_co_i32 s6, s6, 1
	s_cmp_lt_u32 s2, 6
	s_cbranch_scc1 .LBB0_22
; %bb.3:
	v_add_nc_u32_e32 v2, 0x800, v8
	v_add_nc_u32_e32 v0, 0x400, v8
	;; [unrolled: 1-line block ×3, first 2 shown]
	s_and_b32 s7, s6, -4
	s_movk_i32 s5, 0x200
	s_delay_alu instid0(VALU_DEP_2) | instskip(NEXT) | instid1(VALU_DEP_2)
	v_dual_mov_b32 v3, v2 :: v_dual_mov_b32 v1, v0
	v_dual_mov_b32 v5, v4 :: v_dual_mov_b32 v10, 0
	s_mov_b32 s4, 0
	s_branch .LBB0_5
.LBB0_4:                                ;   in Loop: Header=BB0_5 Depth=1
	s_or_b32 exec_lo, exec_lo, s2
	s_add_co_i32 s7, s7, -4
	s_addk_co_i32 s5, 0x1000
	s_addk_co_i32 s4, 0x1000
	s_cmp_lg_u32 s7, 0
	s_cbranch_scc0 .LBB0_23
.LBB0_5:                                ; =>This Inner Loop Header: Depth=1
	v_dual_add_nc_u32 v11, s5, v8 :: v_dual_add_nc_u32 v12, s4, v8
	s_mov_b32 s13, exec_lo
	s_delay_alu instid0(VALU_DEP_1) | instskip(NEXT) | instid1(VALU_DEP_2)
	v_cmp_gt_i32_e32 vcc_lo, s9, v11
	v_cmpx_gt_i32_e64 s9, v12
; %bb.6:                                ;   in Loop: Header=BB0_5 Depth=1
	v_lshl_add_u32 v12, v12, 2, 0
	ds_store_b32 v12, v10
; %bb.7:                                ;   in Loop: Header=BB0_5 Depth=1
	s_or_b32 exec_lo, exec_lo, s13
	s_and_saveexec_b32 s2, vcc_lo
; %bb.8:                                ;   in Loop: Header=BB0_5 Depth=1
	v_lshl_add_u32 v11, v11, 2, 0
	ds_store_b32 v11, v10
; %bb.9:                                ;   in Loop: Header=BB0_5 Depth=1
	s_or_b32 exec_lo, exec_lo, s2
	v_dual_add_nc_u32 v11, s5, v1 :: v_dual_add_nc_u32 v12, s4, v0
	s_mov_b32 s13, exec_lo
	s_delay_alu instid0(VALU_DEP_1) | instskip(NEXT) | instid1(VALU_DEP_2)
	v_cmp_gt_i32_e32 vcc_lo, s9, v11
	v_cmpx_gt_i32_e64 s9, v12
; %bb.10:                               ;   in Loop: Header=BB0_5 Depth=1
	v_lshl_add_u32 v12, v12, 2, 0
	ds_store_b32 v12, v10
; %bb.11:                               ;   in Loop: Header=BB0_5 Depth=1
	s_or_b32 exec_lo, exec_lo, s13
	s_and_saveexec_b32 s2, vcc_lo
; %bb.12:                               ;   in Loop: Header=BB0_5 Depth=1
	v_lshl_add_u32 v11, v11, 2, 0
	ds_store_b32 v11, v10
; %bb.13:                               ;   in Loop: Header=BB0_5 Depth=1
	s_or_b32 exec_lo, exec_lo, s2
	v_dual_add_nc_u32 v11, s5, v3 :: v_dual_add_nc_u32 v12, s4, v2
	s_mov_b32 s13, exec_lo
	s_delay_alu instid0(VALU_DEP_1) | instskip(NEXT) | instid1(VALU_DEP_2)
	v_cmp_gt_i32_e32 vcc_lo, s9, v11
	v_cmpx_gt_i32_e64 s9, v12
; %bb.14:                               ;   in Loop: Header=BB0_5 Depth=1
	v_lshl_add_u32 v12, v12, 2, 0
	ds_store_b32 v12, v10
; %bb.15:                               ;   in Loop: Header=BB0_5 Depth=1
	s_or_b32 exec_lo, exec_lo, s13
	s_and_saveexec_b32 s2, vcc_lo
; %bb.16:                               ;   in Loop: Header=BB0_5 Depth=1
	v_lshl_add_u32 v11, v11, 2, 0
	ds_store_b32 v11, v10
; %bb.17:                               ;   in Loop: Header=BB0_5 Depth=1
	s_or_b32 exec_lo, exec_lo, s2
	v_dual_add_nc_u32 v11, s5, v5 :: v_dual_add_nc_u32 v12, s4, v4
	s_mov_b32 s13, exec_lo
	s_delay_alu instid0(VALU_DEP_1) | instskip(NEXT) | instid1(VALU_DEP_2)
	v_cmp_gt_i32_e32 vcc_lo, s9, v11
	v_cmpx_gt_i32_e64 s9, v12
; %bb.18:                               ;   in Loop: Header=BB0_5 Depth=1
	v_lshl_add_u32 v12, v12, 2, 0
	ds_store_b32 v12, v10
; %bb.19:                               ;   in Loop: Header=BB0_5 Depth=1
	s_or_b32 exec_lo, exec_lo, s13
	s_and_saveexec_b32 s2, vcc_lo
	s_cbranch_execz .LBB0_4
; %bb.20:                               ;   in Loop: Header=BB0_5 Depth=1
	v_lshl_add_u32 v11, v11, 2, 0
	ds_store_b32 v11, v10
	s_branch .LBB0_4
.LBB0_21:
	s_mov_b32 s2, 0
	s_cbranch_execnz .LBB0_31
	s_branch .LBB0_35
.LBB0_22:
	s_mov_b64 s[4:5], 0x20000000000
.LBB0_23:
	s_and_b32 s6, s6, 3
	s_delay_alu instid0(SALU_CYCLE_1)
	s_cmp_eq_u32 s6, 0
	s_cbranch_scc1 .LBB0_30
; %bb.24:
	v_mov_b32_e32 v0, 0
	s_branch .LBB0_26
.LBB0_25:                               ;   in Loop: Header=BB0_26 Depth=1
	s_or_b32 exec_lo, exec_lo, s2
	s_add_co_i32 s6, s6, -1
	s_addk_co_i32 s5, 0x400
	s_addk_co_i32 s4, 0x400
	s_cmp_lg_u32 s6, 0
	s_cbranch_scc0 .LBB0_30
.LBB0_26:                               ; =>This Inner Loop Header: Depth=1
	v_dual_add_nc_u32 v1, s5, v8 :: v_dual_add_nc_u32 v2, s4, v8
	s_mov_b32 s7, exec_lo
	s_delay_alu instid0(VALU_DEP_1) | instskip(NEXT) | instid1(VALU_DEP_2)
	v_cmp_gt_i32_e32 vcc_lo, s9, v1
	v_cmpx_gt_i32_e64 s9, v2
; %bb.27:                               ;   in Loop: Header=BB0_26 Depth=1
	v_lshl_add_u32 v2, v2, 2, 0
	ds_store_b32 v2, v0
; %bb.28:                               ;   in Loop: Header=BB0_26 Depth=1
	s_or_b32 exec_lo, exec_lo, s7
	s_and_saveexec_b32 s2, vcc_lo
	s_cbranch_execz .LBB0_25
; %bb.29:                               ;   in Loop: Header=BB0_26 Depth=1
	v_lshl_add_u32 v1, v1, 2, 0
	ds_store_b32 v1, v0
	s_branch .LBB0_25
.LBB0_30:
	s_add_co_i32 s3, s3, 1
	s_delay_alu instid0(SALU_CYCLE_1) | instskip(NEXT) | instid1(SALU_CYCLE_1)
	s_and_b32 s4, s3, 0xfffffe
	s_lshl_b32 s2, s4, 9
	s_cmp_lg_u32 s3, s4
	s_cselect_b32 s3, -1, 0
	s_delay_alu instid0(SALU_CYCLE_1)
	s_and_b32 vcc_lo, exec_lo, s3
	s_cbranch_vccz .LBB0_35
.LBB0_31:
	v_add3_u32 v0, v6, s2, v7
	v_mov_b32_e32 v1, 0
	s_delay_alu instid0(VALU_DEP_2)
	v_lshl_add_u32 v0, v0, 2, 0
	s_branch .LBB0_33
.LBB0_32:                               ;   in Loop: Header=BB0_33 Depth=1
	s_or_b32 exec_lo, exec_lo, s3
	v_add_nc_u32_e32 v0, 0x800, v0
	s_addk_co_i32 s2, 0x200
	s_delay_alu instid0(SALU_CYCLE_1)
	s_cmp_ge_i32 s2, s9
	s_cbranch_scc1 .LBB0_35
.LBB0_33:                               ; =>This Inner Loop Header: Depth=1
	v_add_nc_u32_e32 v2, s2, v8
	s_mov_b32 s3, exec_lo
	s_delay_alu instid0(VALU_DEP_1)
	v_cmpx_gt_i32_e64 s9, v2
	s_cbranch_execz .LBB0_32
; %bb.34:                               ;   in Loop: Header=BB0_33 Depth=1
	ds_store_b32 v0, v1
	s_branch .LBB0_32
.LBB0_35:
	s_clause 0x1
	s_load_b128 s[4:7], s[0:1], 0x0
	s_load_b64 s[2:3], s[0:1], 0x10
	s_bfe_u32 s13, ttmp6, 0x4000c
	s_wait_xcnt 0x0
	s_and_b32 s0, ttmp6, 15
	s_add_co_i32 s13, s13, 1
	v_lshlrev_b32_e32 v4, 2, v6
	s_mul_i32 s1, ttmp9, s13
	s_getreg_b32 s13, hwreg(HW_REG_IB_STS2, 6, 4)
	s_add_co_i32 s0, s0, s1
	s_cmp_eq_u32 s13, 0
	v_add_nc_u32_e32 v10, 0, v4
	s_cselect_b32 s0, ttmp9, s0
	s_lshl_b32 s1, s9, 2
	s_lshl_b32 s13, s0, 13
	s_add_co_i32 s14, s1, 0
	s_cmp_lt_i32 s10, 1
	v_lshl_add_u32 v5, v8, 2, s14
	s_cselect_b32 s16, -1, 0
	s_ashr_i32 s1, s10, 31
	s_mov_b32 s0, s10
	s_lshl_b32 s15, s10, 2
	s_xor_b32 s16, s16, -1
	s_wait_dscnt 0x0
	s_barrier_signal -1
	s_barrier_wait -1
	s_branch .LBB0_37
.LBB0_36:                               ;   in Loop: Header=BB0_37 Depth=1
	s_add_co_i32 s17, s12, 0x200
	s_cmp_gt_u32 s12, 0x1dff
	s_mov_b32 s12, s17
	s_wait_dscnt 0x0
	s_barrier_signal -1
	s_barrier_wait -1
	s_cbranch_scc1 .LBB0_51
.LBB0_37:                               ; =>This Loop Header: Depth=1
                                        ;     Child Loop BB0_41 Depth 2
                                        ;       Child Loop BB0_44 Depth 3
                                        ;       Child Loop BB0_49 Depth 3
	s_add_co_i32 s17, s12, s13
	s_mov_b32 s18, exec_lo
	v_add_nc_u32_e32 v0, s17, v8
	s_delay_alu instid0(VALU_DEP_1)
	v_cmpx_gt_i32_e64 s8, v0
	s_cbranch_execz .LBB0_39
; %bb.38:                               ;   in Loop: Header=BB0_37 Depth=1
	s_wait_kmcnt 0x0
	global_load_b32 v0, v0, s[4:5] scale_offset
	s_wait_loadcnt 0x0
	ds_store_b32 v5, v0
.LBB0_39:                               ;   in Loop: Header=BB0_37 Depth=1
	s_or_b32 exec_lo, exec_lo, s18
	v_add_nc_u32_e32 v11, s17, v9
	s_mov_b32 s18, 0
	s_wait_dscnt 0x0
	s_barrier_signal -1
	s_barrier_wait -1
	s_branch .LBB0_41
.LBB0_40:                               ;   in Loop: Header=BB0_41 Depth=2
	s_or_b32 exec_lo, exec_lo, s20
	s_add_co_i32 s18, s18, 32
	s_cmp_gt_u32 s19, 0x1ef
	s_cbranch_scc1 .LBB0_36
.LBB0_41:                               ;   Parent Loop BB0_37 Depth=1
                                        ; =>  This Loop Header: Depth=2
                                        ;       Child Loop BB0_44 Depth 3
                                        ;       Child Loop BB0_49 Depth 3
	v_add_nc_u32_e32 v1, s18, v9
	s_delay_alu instid0(VALU_DEP_1) | instskip(SKIP_1) | instid1(VALU_DEP_2)
	v_add_nc_u32_e32 v0, s17, v1
	v_lshl_add_u32 v12, v1, 2, s14
	v_cmp_gt_i32_e32 vcc_lo, s8, v0
	s_and_b32 s20, vcc_lo, s16
	s_delay_alu instid0(SALU_CYCLE_1)
	s_and_saveexec_b32 s19, s20
	s_cbranch_execz .LBB0_46
; %bb.42:                               ;   in Loop: Header=BB0_41 Depth=2
	v_ashrrev_i32_e32 v1, 31, v0
	ds_load_b32 v2, v12
	s_mov_b32 s20, 0
	v_mul_u64_e32 v[0:1], s[0:1], v[0:1]
	s_wait_dscnt 0x0
	v_mad_u32 v13, s15, v2, v10
	s_wait_kmcnt 0x0
	s_delay_alu instid0(VALU_DEP_2)
	v_lshl_add_u64 v[0:1], v[0:1], 2, s[6:7]
	s_branch .LBB0_44
.LBB0_43:                               ;   in Loop: Header=BB0_44 Depth=3
	s_wait_xcnt 0x0
	s_or_b32 exec_lo, exec_lo, s21
	s_delay_alu instid0(VALU_DEP_3) | instskip(SKIP_1) | instid1(SALU_CYCLE_1)
	v_add_nc_u32_e32 v13, 0x80, v13
	s_add_co_i32 s20, s20, 32
	s_cmp_lt_i32 s20, s10
	s_cbranch_scc0 .LBB0_46
.LBB0_44:                               ;   Parent Loop BB0_37 Depth=1
                                        ;     Parent Loop BB0_41 Depth=2
                                        ; =>    This Inner Loop Header: Depth=3
	v_add_nc_u32_e32 v2, s20, v6
	s_mov_b32 s21, exec_lo
	s_delay_alu instid0(VALU_DEP_1)
	v_cmpx_gt_i32_e64 s10, v2
	s_cbranch_execz .LBB0_43
; %bb.45:                               ;   in Loop: Header=BB0_44 Depth=3
	v_ashrrev_i32_e32 v3, 31, v2
	s_delay_alu instid0(VALU_DEP_1)
	v_lshl_add_u64 v[2:3], v[2:3], 2, v[0:1]
	global_load_b32 v2, v[2:3], off
	s_wait_loadcnt 0x0
	ds_add_f32 v13, v2
	s_branch .LBB0_43
.LBB0_46:                               ;   in Loop: Header=BB0_41 Depth=2
	s_or_b32 exec_lo, exec_lo, s19
	s_or_b32 s19, s18, 16
	s_delay_alu instid0(SALU_CYCLE_1) | instskip(NEXT) | instid1(VALU_DEP_1)
	v_add_nc_u32_e32 v0, s19, v11
	v_cmp_gt_i32_e32 vcc_lo, s8, v0
	s_and_b32 s21, vcc_lo, s16
	s_delay_alu instid0(SALU_CYCLE_1)
	s_and_saveexec_b32 s20, s21
	s_cbranch_execz .LBB0_40
; %bb.47:                               ;   in Loop: Header=BB0_41 Depth=2
	v_ashrrev_i32_e32 v1, 31, v0
	ds_load_b32 v2, v12 offset:64
	s_mov_b32 s21, 0
	v_mul_u64_e32 v[0:1], s[0:1], v[0:1]
	s_wait_dscnt 0x0
	v_mad_u32 v12, s15, v2, v10
	s_wait_kmcnt 0x0
	s_delay_alu instid0(VALU_DEP_2)
	v_lshl_add_u64 v[0:1], v[0:1], 2, s[6:7]
	s_branch .LBB0_49
.LBB0_48:                               ;   in Loop: Header=BB0_49 Depth=3
	s_wait_xcnt 0x0
	s_or_b32 exec_lo, exec_lo, s22
	s_delay_alu instid0(VALU_DEP_3) | instskip(SKIP_1) | instid1(SALU_CYCLE_1)
	v_add_nc_u32_e32 v12, 0x80, v12
	s_add_co_i32 s21, s21, 32
	s_cmp_lt_i32 s21, s10
	s_cbranch_scc0 .LBB0_40
.LBB0_49:                               ;   Parent Loop BB0_37 Depth=1
                                        ;     Parent Loop BB0_41 Depth=2
                                        ; =>    This Inner Loop Header: Depth=3
	v_add_nc_u32_e32 v2, s21, v6
	s_mov_b32 s22, exec_lo
	s_delay_alu instid0(VALU_DEP_1)
	v_cmpx_gt_i32_e64 s10, v2
	s_cbranch_execz .LBB0_48
; %bb.50:                               ;   in Loop: Header=BB0_49 Depth=3
	v_ashrrev_i32_e32 v3, 31, v2
	s_delay_alu instid0(VALU_DEP_1)
	v_lshl_add_u64 v[2:3], v[2:3], 2, v[0:1]
	global_load_b32 v2, v[2:3], off
	s_wait_loadcnt 0x0
	ds_add_f32 v12, v2
	s_branch .LBB0_48
.LBB0_51:
	s_and_not1_b32 vcc_lo, exec_lo, s11
	s_cbranch_vccnz .LBB0_76
; %bb.52:
	s_add_co_i32 s0, s9, -1
	s_mov_b32 s1, 0
	s_lshr_b32 s0, s0, 9
	s_delay_alu instid0(SALU_CYCLE_1)
	s_add_co_i32 s0, s0, 1
	s_cmp_lt_u32 s9, 0xe01
	s_cbranch_scc1 .LBB0_71
; %bb.53:
	v_lshlrev_b32_e32 v0, 7, v9
	s_wait_kmcnt 0x0
	s_and_b32 s4, s0, 0xfffff8
	s_delay_alu instid0(VALU_DEP_1)
	v_add3_u32 v0, v0, v4, 0
	s_branch .LBB0_55
.LBB0_54:                               ;   in Loop: Header=BB0_55 Depth=1
	s_wait_xcnt 0x0
	s_or_b32 exec_lo, exec_lo, s5
	v_add_nc_u32_e32 v0, 0x4000, v0
	s_add_co_i32 s4, s4, -8
	s_addk_co_i32 s1, 0x1000
	s_cmp_eq_u32 s4, 0
	s_cbranch_scc1 .LBB0_71
.LBB0_55:                               ; =>This Inner Loop Header: Depth=1
	v_add_nc_u32_e32 v1, s1, v8
	s_mov_b32 s5, exec_lo
	s_delay_alu instid0(VALU_DEP_1)
	v_cmpx_gt_i32_e64 s9, v1
	s_cbranch_execz .LBB0_57
; %bb.56:                               ;   in Loop: Header=BB0_55 Depth=1
	ds_load_b32 v2, v0
	s_wait_dscnt 0x0
	global_atomic_add_f32 v1, v2, s[2:3] scale_offset scope:SCOPE_DEV
.LBB0_57:                               ;   in Loop: Header=BB0_55 Depth=1
	s_wait_xcnt 0x0
	s_or_b32 exec_lo, exec_lo, s5
	v_add_nc_u32_e32 v2, 0x200, v1
	s_mov_b32 s5, exec_lo
	s_delay_alu instid0(VALU_DEP_1)
	v_cmpx_gt_i32_e64 s9, v2
	s_cbranch_execz .LBB0_59
; %bb.58:                               ;   in Loop: Header=BB0_55 Depth=1
	ds_load_b32 v2, v0 offset:2048
	s_wait_dscnt 0x0
	global_atomic_add_f32 v1, v2, s[2:3] offset:2048 scale_offset scope:SCOPE_DEV
.LBB0_59:                               ;   in Loop: Header=BB0_55 Depth=1
	s_wait_xcnt 0x0
	s_or_b32 exec_lo, exec_lo, s5
	v_add_nc_u32_e32 v2, 0x400, v1
	s_mov_b32 s5, exec_lo
	s_delay_alu instid0(VALU_DEP_1)
	v_cmpx_gt_i32_e64 s9, v2
	s_cbranch_execz .LBB0_61
; %bb.60:                               ;   in Loop: Header=BB0_55 Depth=1
	ds_load_b32 v2, v0 offset:4096
	s_wait_dscnt 0x0
	global_atomic_add_f32 v1, v2, s[2:3] offset:4096 scale_offset scope:SCOPE_DEV
.LBB0_61:                               ;   in Loop: Header=BB0_55 Depth=1
	;; [unrolled: 12-line block ×6, first 2 shown]
	s_wait_xcnt 0x0
	s_or_b32 exec_lo, exec_lo, s5
	v_add_nc_u32_e32 v2, 0xe00, v1
	s_mov_b32 s5, exec_lo
	s_delay_alu instid0(VALU_DEP_1)
	v_cmpx_gt_i32_e64 s9, v2
	s_cbranch_execz .LBB0_54
; %bb.70:                               ;   in Loop: Header=BB0_55 Depth=1
	ds_load_b32 v2, v0 offset:14336
	s_wait_dscnt 0x0
	global_atomic_add_f32 v1, v2, s[2:3] offset:14336 scale_offset scope:SCOPE_DEV
	s_branch .LBB0_54
.LBB0_71:
	s_and_b32 s0, s0, 7
	s_delay_alu instid0(SALU_CYCLE_1)
	s_cmp_eq_u32 s0, 0
	s_cbranch_scc1 .LBB0_76
; %bb.72:
	v_add3_u32 v0, v6, s1, v7
	s_lshl_b32 s0, s0, 2
	s_delay_alu instid0(VALU_DEP_1)
	v_lshl_add_u32 v1, v0, 2, 0
	s_branch .LBB0_74
.LBB0_73:                               ;   in Loop: Header=BB0_74 Depth=1
	s_wait_xcnt 0x0
	s_or_b32 exec_lo, exec_lo, s1
	v_add_nc_u32_e32 v1, 0x800, v1
	v_add_nc_u32_e32 v0, 0x200, v0
	s_add_co_i32 s0, s0, -4
	s_delay_alu instid0(SALU_CYCLE_1)
	s_cmp_lg_u32 s0, 0
	s_cbranch_scc0 .LBB0_76
.LBB0_74:                               ; =>This Inner Loop Header: Depth=1
	s_mov_b32 s1, exec_lo
	v_cmpx_gt_i32_e64 s9, v0
	s_cbranch_execz .LBB0_73
; %bb.75:                               ;   in Loop: Header=BB0_74 Depth=1
	ds_load_b32 v2, v1
	s_wait_dscnt 0x0
	s_wait_kmcnt 0x0
	global_atomic_add_f32 v0, v2, s[2:3] scale_offset scope:SCOPE_DEV
	s_branch .LBB0_73
.LBB0_76:
	s_endpgm
	.section	.rodata,"a",@progbits
	.p2align	6, 0x0
	.amdhsa_kernel _Z17scatterAdd_kernelPKiPKfPfiii
		.amdhsa_group_segment_fixed_size 0
		.amdhsa_private_segment_fixed_size 0
		.amdhsa_kernarg_size 36
		.amdhsa_user_sgpr_count 2
		.amdhsa_user_sgpr_dispatch_ptr 0
		.amdhsa_user_sgpr_queue_ptr 0
		.amdhsa_user_sgpr_kernarg_segment_ptr 1
		.amdhsa_user_sgpr_dispatch_id 0
		.amdhsa_user_sgpr_kernarg_preload_length 0
		.amdhsa_user_sgpr_kernarg_preload_offset 0
		.amdhsa_user_sgpr_private_segment_size 0
		.amdhsa_wavefront_size32 1
		.amdhsa_uses_dynamic_stack 0
		.amdhsa_enable_private_segment 0
		.amdhsa_system_sgpr_workgroup_id_x 1
		.amdhsa_system_sgpr_workgroup_id_y 0
		.amdhsa_system_sgpr_workgroup_id_z 0
		.amdhsa_system_sgpr_workgroup_info 0
		.amdhsa_system_vgpr_workitem_id 1
		.amdhsa_next_free_vgpr 14
		.amdhsa_next_free_sgpr 23
		.amdhsa_named_barrier_count 0
		.amdhsa_reserve_vcc 1
		.amdhsa_float_round_mode_32 0
		.amdhsa_float_round_mode_16_64 0
		.amdhsa_float_denorm_mode_32 3
		.amdhsa_float_denorm_mode_16_64 3
		.amdhsa_fp16_overflow 0
		.amdhsa_memory_ordered 1
		.amdhsa_forward_progress 1
		.amdhsa_inst_pref_size 17
		.amdhsa_round_robin_scheduling 0
		.amdhsa_exception_fp_ieee_invalid_op 0
		.amdhsa_exception_fp_denorm_src 0
		.amdhsa_exception_fp_ieee_div_zero 0
		.amdhsa_exception_fp_ieee_overflow 0
		.amdhsa_exception_fp_ieee_underflow 0
		.amdhsa_exception_fp_ieee_inexact 0
		.amdhsa_exception_int_div_zero 0
	.end_amdhsa_kernel
	.text
.Lfunc_end0:
	.size	_Z17scatterAdd_kernelPKiPKfPfiii, .Lfunc_end0-_Z17scatterAdd_kernelPKiPKfPfiii
                                        ; -- End function
	.set _Z17scatterAdd_kernelPKiPKfPfiii.num_vgpr, 14
	.set _Z17scatterAdd_kernelPKiPKfPfiii.num_agpr, 0
	.set _Z17scatterAdd_kernelPKiPKfPfiii.numbered_sgpr, 23
	.set _Z17scatterAdd_kernelPKiPKfPfiii.num_named_barrier, 0
	.set _Z17scatterAdd_kernelPKiPKfPfiii.private_seg_size, 0
	.set _Z17scatterAdd_kernelPKiPKfPfiii.uses_vcc, 1
	.set _Z17scatterAdd_kernelPKiPKfPfiii.uses_flat_scratch, 0
	.set _Z17scatterAdd_kernelPKiPKfPfiii.has_dyn_sized_stack, 0
	.set _Z17scatterAdd_kernelPKiPKfPfiii.has_recursion, 0
	.set _Z17scatterAdd_kernelPKiPKfPfiii.has_indirect_call, 0
	.section	.AMDGPU.csdata,"",@progbits
; Kernel info:
; codeLenInByte = 2156
; TotalNumSgprs: 25
; NumVgprs: 14
; ScratchSize: 0
; MemoryBound: 0
; FloatMode: 240
; IeeeMode: 1
; LDSByteSize: 0 bytes/workgroup (compile time only)
; SGPRBlocks: 0
; VGPRBlocks: 0
; NumSGPRsForWavesPerEU: 25
; NumVGPRsForWavesPerEU: 14
; NamedBarCnt: 0
; Occupancy: 16
; WaveLimiterHint : 0
; COMPUTE_PGM_RSRC2:SCRATCH_EN: 0
; COMPUTE_PGM_RSRC2:USER_SGPR: 2
; COMPUTE_PGM_RSRC2:TRAP_HANDLER: 0
; COMPUTE_PGM_RSRC2:TGID_X_EN: 1
; COMPUTE_PGM_RSRC2:TGID_Y_EN: 0
; COMPUTE_PGM_RSRC2:TGID_Z_EN: 0
; COMPUTE_PGM_RSRC2:TIDIG_COMP_CNT: 1
	.text
	.protected	_Z18scatterAdd2_kernelPKiPKfPfiii ; -- Begin function _Z18scatterAdd2_kernelPKiPKfPfiii
	.globl	_Z18scatterAdd2_kernelPKiPKfPfiii
	.p2align	8
	.type	_Z18scatterAdd2_kernelPKiPKfPfiii,@function
_Z18scatterAdd2_kernelPKiPKfPfiii:      ; @_Z18scatterAdd2_kernelPKiPKfPfiii
; %bb.0:
	s_load_b96 s[8:10], s[0:1], 0x18
	v_bfe_u32 v3, v0, 10, 10
	v_and_b32_e32 v9, 0x3ff, v0
                                        ; implicit-def: $vgpr10
	s_delay_alu instid0(VALU_DEP_1)
	v_lshl_add_u32 v8, v3, 5, v9
	v_lshlrev_b32_e32 v0, 2, v9
	s_wait_kmcnt 0x0
	s_mul_i32 s9, s10, s9
	s_delay_alu instid0(VALU_DEP_2) | instid1(SALU_CYCLE_1)
	v_cmp_le_i32_e64 s2, s9, v8
	v_cmp_gt_i32_e32 vcc_lo, s9, v8
	s_and_saveexec_b32 s3, s2
	s_delay_alu instid0(SALU_CYCLE_1)
	s_xor_b32 s2, exec_lo, s3
; %bb.1:
	v_lshlrev_b32_e32 v10, 2, v9
; %bb.2:
	s_or_saveexec_b32 s3, s2
	v_lshlrev_b32_e32 v2, 7, v3
	s_xor_b32 exec_lo, exec_lo, s3
	s_cbranch_execz .LBB1_6
; %bb.3:
	s_delay_alu instid0(VALU_DEP_1)
	v_add3_u32 v1, v2, v0, 0
	v_dual_mov_b32 v4, 0 :: v_dual_mov_b32 v5, v8
	s_mov_b32 s4, 0
.LBB1_4:                                ; =>This Inner Loop Header: Depth=1
	s_delay_alu instid0(VALU_DEP_1) | instskip(SKIP_4) | instid1(SALU_CYCLE_1)
	v_add_nc_u32_e32 v5, 0x200, v5
	ds_store_b32 v1, v4
	v_add_nc_u32_e32 v1, 0x800, v1
	v_cmp_le_i32_e64 s2, s9, v5
	s_or_b32 s4, s2, s4
	s_and_not1_b32 exec_lo, exec_lo, s4
	s_cbranch_execnz .LBB1_4
; %bb.5:
	s_or_b32 exec_lo, exec_lo, s4
	v_mov_b32_e32 v10, v0
.LBB1_6:
	s_or_b32 exec_lo, exec_lo, s3
	s_clause 0x1
	s_load_b128 s[4:7], s[0:1], 0x0
	s_load_b64 s[2:3], s[0:1], 0x10
	s_bfe_u32 s11, ttmp6, 0x4000c
	s_wait_xcnt 0x0
	s_and_b32 s0, ttmp6, 15
	s_add_co_i32 s11, s11, 1
	s_mov_b32 s14, s10
	s_mul_i32 s1, ttmp9, s11
	s_getreg_b32 s11, hwreg(HW_REG_IB_STS2, 6, 4)
	s_add_co_i32 s0, s0, s1
	s_cmp_eq_u32 s11, 0
	s_mov_b32 s1, 0
	s_cselect_b32 s0, ttmp9, s0
	s_lshl_b32 s12, s9, 2
	s_lshl_b32 s11, s0, 13
	s_delay_alu instid0(SALU_CYCLE_1) | instskip(SKIP_3) | instid1(VALU_DEP_3)
	v_dual_mov_b32 v1, 0 :: v_dual_bitop2_b32 v11, s11, v3 bitop3:0x54
	s_add_co_i32 s12, s12, 0
	v_cmp_le_i32_e64 s0, s10, v9
	v_lshl_add_u32 v12, v8, 2, s12
	v_dual_add_nc_u32 v13, 0, v10 :: v_dual_add_nc_u32 v14, 16, v11
	s_wait_kmcnt 0x0
	v_add_nc_u64_e32 v[4:5], s[6:7], v[0:1]
	s_ashr_i32 s15, s10, 31
	s_lshl_b32 s13, s10, 2
	s_lshl_b64 s[6:7], s[14:15], 2
	s_xor_b32 s14, s0, -1
	s_branch .LBB1_8
.LBB1_7:                                ;   in Loop: Header=BB1_8 Depth=1
	v_add_nc_u32_e32 v11, 0x200, v11
	v_add_nc_u32_e32 v14, 0x200, v14
	s_add_co_i32 s0, s1, 0x200
	s_cmp_gt_u32 s1, 0x1dff
	s_mov_b32 s1, s0
	s_wait_dscnt 0x0
	s_barrier_signal -1
	s_barrier_wait -1
	s_cbranch_scc1 .LBB1_18
.LBB1_8:                                ; =>This Loop Header: Depth=1
                                        ;     Child Loop BB1_12 Depth 2
                                        ;       Child Loop BB1_14 Depth 3
                                        ;       Child Loop BB1_17 Depth 3
	s_add_co_i32 s15, s1, s11
	s_mov_b32 s16, exec_lo
	v_add_nc_u32_e32 v6, s15, v8
	s_delay_alu instid0(VALU_DEP_1)
	v_cmpx_gt_i32_e64 s8, v6
	s_cbranch_execz .LBB1_10
; %bb.9:                                ;   in Loop: Header=BB1_8 Depth=1
	global_load_b32 v6, v6, s[4:5] scale_offset
	s_wait_loadcnt 0x0
	ds_store_b32 v12, v6
.LBB1_10:                               ;   in Loop: Header=BB1_8 Depth=1
	s_or_b32 exec_lo, exec_lo, s16
	v_dual_mov_b32 v16, v14 :: v_dual_add_nc_u32 v15, s15, v3
	v_mov_b32_e32 v17, v11
	s_mov_b32 s16, 0
	s_wait_dscnt 0x0
	s_barrier_signal -1
	s_barrier_wait -1
	s_branch .LBB1_12
.LBB1_11:                               ;   in Loop: Header=BB1_12 Depth=2
	s_or_b32 exec_lo, exec_lo, s18
	v_dual_add_nc_u32 v17, 32, v17 :: v_dual_add_nc_u32 v16, 32, v16
	s_add_co_i32 s16, s16, 32
	s_cmp_gt_u32 s17, 0x1ef
	s_cbranch_scc1 .LBB1_7
.LBB1_12:                               ;   Parent Loop BB1_8 Depth=1
                                        ; =>  This Loop Header: Depth=2
                                        ;       Child Loop BB1_14 Depth 3
                                        ;       Child Loop BB1_17 Depth 3
	v_add_nc_u32_e32 v6, s16, v3
	s_delay_alu instid0(VALU_DEP_1) | instskip(SKIP_1) | instid1(VALU_DEP_2)
	v_add_nc_u32_e32 v7, s15, v6
	v_lshl_add_u32 v18, v6, 2, s12
	v_cmp_gt_i32_e64 s0, s8, v7
	s_and_b32 s0, s0, s14
	s_delay_alu instid0(SALU_CYCLE_1)
	s_and_saveexec_b32 s17, s0
	s_cbranch_execz .LBB1_15
; %bb.13:                               ;   in Loop: Header=BB1_12 Depth=2
	v_mad_nc_u64_u32 v[6:7], s6, v17, v[4:5]
	ds_load_b32 v19, v18
	v_ashrrev_i32_e32 v20, 31, v17
	s_mov_b32 s18, 0
	v_mad_u32 v7, s7, v17, v7
	s_wait_dscnt 0x0
	v_mad_u32 v19, s13, v19, v13
	s_delay_alu instid0(VALU_DEP_2)
	v_mad_u32 v7, s6, v20, v7
	v_mov_b32_e32 v20, v9
.LBB1_14:                               ;   Parent Loop BB1_8 Depth=1
                                        ;     Parent Loop BB1_12 Depth=2
                                        ; =>    This Inner Loop Header: Depth=3
	global_load_b32 v21, v[6:7], off
	v_add_nc_u32_e32 v20, 32, v20
	s_wait_xcnt 0x0
	v_add_nc_u64_e32 v[6:7], 0x80, v[6:7]
	s_delay_alu instid0(VALU_DEP_2)
	v_cmp_le_i32_e64 s0, s10, v20
	s_or_b32 s18, s0, s18
	s_wait_loadcnt 0x0
	ds_add_f32 v19, v21
	v_add_nc_u32_e32 v19, 0x80, v19
	s_and_not1_b32 exec_lo, exec_lo, s18
	s_cbranch_execnz .LBB1_14
.LBB1_15:                               ;   in Loop: Header=BB1_12 Depth=2
	s_or_b32 exec_lo, exec_lo, s17
	s_or_b32 s17, s16, 16
	s_delay_alu instid0(SALU_CYCLE_1) | instskip(NEXT) | instid1(VALU_DEP_1)
	v_add_nc_u32_e32 v6, s17, v15
	v_cmp_gt_i32_e64 s0, s8, v6
	s_and_b32 s0, s0, s14
	s_delay_alu instid0(SALU_CYCLE_1)
	s_and_saveexec_b32 s18, s0
	s_cbranch_execz .LBB1_11
; %bb.16:                               ;   in Loop: Header=BB1_12 Depth=2
	v_mad_nc_u64_u32 v[6:7], s6, v16, v[4:5]
	ds_load_b32 v18, v18 offset:64
	v_ashrrev_i32_e32 v19, 31, v16
	s_mov_b32 s19, 0
	v_mad_u32 v7, s7, v16, v7
	s_wait_dscnt 0x0
	v_mad_u32 v18, s13, v18, v13
	s_delay_alu instid0(VALU_DEP_2)
	v_mad_u32 v7, s6, v19, v7
	v_mov_b32_e32 v19, v9
.LBB1_17:                               ;   Parent Loop BB1_8 Depth=1
                                        ;     Parent Loop BB1_12 Depth=2
                                        ; =>    This Inner Loop Header: Depth=3
	global_load_b32 v20, v[6:7], off
	v_add_nc_u32_e32 v19, 32, v19
	s_wait_xcnt 0x0
	v_add_nc_u64_e32 v[6:7], 0x80, v[6:7]
	s_delay_alu instid0(VALU_DEP_2)
	v_cmp_le_i32_e64 s0, s10, v19
	s_or_b32 s19, s0, s19
	s_wait_loadcnt 0x0
	ds_add_f32 v18, v20
	v_add_nc_u32_e32 v18, 0x80, v18
	s_and_not1_b32 exec_lo, exec_lo, s19
	s_cbranch_execnz .LBB1_17
	s_branch .LBB1_11
.LBB1_18:
	s_and_saveexec_b32 s0, vcc_lo
	s_cbranch_execz .LBB1_21
; %bb.19:
	v_mov_b32_e32 v3, 0
	s_mov_b32 s0, 0
	s_delay_alu instid0(VALU_DEP_1) | instskip(SKIP_1) | instid1(VALU_DEP_2)
	v_add_nc_u64_e32 v[0:1], v[2:3], v[0:1]
	v_add3_u32 v2, v2, v10, 0
	v_add_nc_u64_e32 v[0:1], s[2:3], v[0:1]
.LBB1_20:                               ; =>This Inner Loop Header: Depth=1
	ds_load_b32 v3, v2
	v_add_nc_u32_e32 v8, 0x200, v8
	v_add_nc_u32_e32 v2, 0x800, v2
	s_delay_alu instid0(VALU_DEP_2)
	v_cmp_le_i32_e32 vcc_lo, s9, v8
	s_or_b32 s0, vcc_lo, s0
	s_wait_dscnt 0x0
	global_atomic_add_f32 v[0:1], v3, off scope:SCOPE_DEV
	s_wait_xcnt 0x0
	v_add_nc_u64_e32 v[0:1], 0x800, v[0:1]
	s_and_not1_b32 exec_lo, exec_lo, s0
	s_cbranch_execnz .LBB1_20
.LBB1_21:
	s_endpgm
	.section	.rodata,"a",@progbits
	.p2align	6, 0x0
	.amdhsa_kernel _Z18scatterAdd2_kernelPKiPKfPfiii
		.amdhsa_group_segment_fixed_size 0
		.amdhsa_private_segment_fixed_size 0
		.amdhsa_kernarg_size 36
		.amdhsa_user_sgpr_count 2
		.amdhsa_user_sgpr_dispatch_ptr 0
		.amdhsa_user_sgpr_queue_ptr 0
		.amdhsa_user_sgpr_kernarg_segment_ptr 1
		.amdhsa_user_sgpr_dispatch_id 0
		.amdhsa_user_sgpr_kernarg_preload_length 0
		.amdhsa_user_sgpr_kernarg_preload_offset 0
		.amdhsa_user_sgpr_private_segment_size 0
		.amdhsa_wavefront_size32 1
		.amdhsa_uses_dynamic_stack 0
		.amdhsa_enable_private_segment 0
		.amdhsa_system_sgpr_workgroup_id_x 1
		.amdhsa_system_sgpr_workgroup_id_y 0
		.amdhsa_system_sgpr_workgroup_id_z 0
		.amdhsa_system_sgpr_workgroup_info 0
		.amdhsa_system_vgpr_workitem_id 1
		.amdhsa_next_free_vgpr 22
		.amdhsa_next_free_sgpr 20
		.amdhsa_named_barrier_count 0
		.amdhsa_reserve_vcc 1
		.amdhsa_float_round_mode_32 0
		.amdhsa_float_round_mode_16_64 0
		.amdhsa_float_denorm_mode_32 3
		.amdhsa_float_denorm_mode_16_64 3
		.amdhsa_fp16_overflow 0
		.amdhsa_memory_ordered 1
		.amdhsa_forward_progress 1
		.amdhsa_inst_pref_size 8
		.amdhsa_round_robin_scheduling 0
		.amdhsa_exception_fp_ieee_invalid_op 0
		.amdhsa_exception_fp_denorm_src 0
		.amdhsa_exception_fp_ieee_div_zero 0
		.amdhsa_exception_fp_ieee_overflow 0
		.amdhsa_exception_fp_ieee_underflow 0
		.amdhsa_exception_fp_ieee_inexact 0
		.amdhsa_exception_int_div_zero 0
	.end_amdhsa_kernel
	.text
.Lfunc_end1:
	.size	_Z18scatterAdd2_kernelPKiPKfPfiii, .Lfunc_end1-_Z18scatterAdd2_kernelPKiPKfPfiii
                                        ; -- End function
	.set _Z18scatterAdd2_kernelPKiPKfPfiii.num_vgpr, 22
	.set _Z18scatterAdd2_kernelPKiPKfPfiii.num_agpr, 0
	.set _Z18scatterAdd2_kernelPKiPKfPfiii.numbered_sgpr, 20
	.set _Z18scatterAdd2_kernelPKiPKfPfiii.num_named_barrier, 0
	.set _Z18scatterAdd2_kernelPKiPKfPfiii.private_seg_size, 0
	.set _Z18scatterAdd2_kernelPKiPKfPfiii.uses_vcc, 1
	.set _Z18scatterAdd2_kernelPKiPKfPfiii.uses_flat_scratch, 0
	.set _Z18scatterAdd2_kernelPKiPKfPfiii.has_dyn_sized_stack, 0
	.set _Z18scatterAdd2_kernelPKiPKfPfiii.has_recursion, 0
	.set _Z18scatterAdd2_kernelPKiPKfPfiii.has_indirect_call, 0
	.section	.AMDGPU.csdata,"",@progbits
; Kernel info:
; codeLenInByte = 968
; TotalNumSgprs: 22
; NumVgprs: 22
; ScratchSize: 0
; MemoryBound: 0
; FloatMode: 240
; IeeeMode: 1
; LDSByteSize: 0 bytes/workgroup (compile time only)
; SGPRBlocks: 0
; VGPRBlocks: 1
; NumSGPRsForWavesPerEU: 22
; NumVGPRsForWavesPerEU: 22
; NamedBarCnt: 0
; Occupancy: 16
; WaveLimiterHint : 0
; COMPUTE_PGM_RSRC2:SCRATCH_EN: 0
; COMPUTE_PGM_RSRC2:USER_SGPR: 2
; COMPUTE_PGM_RSRC2:TRAP_HANDLER: 0
; COMPUTE_PGM_RSRC2:TGID_X_EN: 1
; COMPUTE_PGM_RSRC2:TGID_Y_EN: 0
; COMPUTE_PGM_RSRC2:TGID_Z_EN: 0
; COMPUTE_PGM_RSRC2:TIDIG_COMP_CNT: 1
	.text
	.p2alignl 7, 3214868480
	.fill 96, 4, 3214868480
	.section	.AMDGPU.gpr_maximums,"",@progbits
	.set amdgpu.max_num_vgpr, 0
	.set amdgpu.max_num_agpr, 0
	.set amdgpu.max_num_sgpr, 0
	.text
	.type	__hip_cuid_864a3e29e2d28fbe,@object ; @__hip_cuid_864a3e29e2d28fbe
	.section	.bss,"aw",@nobits
	.globl	__hip_cuid_864a3e29e2d28fbe
__hip_cuid_864a3e29e2d28fbe:
	.byte	0                               ; 0x0
	.size	__hip_cuid_864a3e29e2d28fbe, 1

	.ident	"AMD clang version 22.0.0git (https://github.com/RadeonOpenCompute/llvm-project roc-7.2.4 26084 f58b06dce1f9c15707c5f808fd002e18c2accf7e)"
	.section	".note.GNU-stack","",@progbits
	.addrsig
	.addrsig_sym buffer
	.addrsig_sym __hip_cuid_864a3e29e2d28fbe
	.amdgpu_metadata
---
amdhsa.kernels:
  - .args:
      - .address_space:  global
        .offset:         0
        .size:           8
        .value_kind:     global_buffer
      - .address_space:  global
        .offset:         8
        .size:           8
        .value_kind:     global_buffer
      - .address_space:  global
        .offset:         16
        .size:           8
        .value_kind:     global_buffer
      - .offset:         24
        .size:           4
        .value_kind:     by_value
      - .offset:         28
        .size:           4
        .value_kind:     by_value
      - .offset:         32
        .size:           4
        .value_kind:     by_value
    .group_segment_fixed_size: 0
    .kernarg_segment_align: 8
    .kernarg_segment_size: 36
    .language:       OpenCL C
    .language_version:
      - 2
      - 0
    .max_flat_workgroup_size: 1024
    .name:           _Z17scatterAdd_kernelPKiPKfPfiii
    .private_segment_fixed_size: 0
    .sgpr_count:     25
    .sgpr_spill_count: 0
    .symbol:         _Z17scatterAdd_kernelPKiPKfPfiii.kd
    .uniform_work_group_size: 1
    .uses_dynamic_stack: false
    .vgpr_count:     14
    .vgpr_spill_count: 0
    .wavefront_size: 32
  - .args:
      - .address_space:  global
        .offset:         0
        .size:           8
        .value_kind:     global_buffer
      - .address_space:  global
        .offset:         8
        .size:           8
        .value_kind:     global_buffer
      - .address_space:  global
        .offset:         16
        .size:           8
        .value_kind:     global_buffer
      - .offset:         24
        .size:           4
        .value_kind:     by_value
      - .offset:         28
        .size:           4
        .value_kind:     by_value
      - .offset:         32
        .size:           4
        .value_kind:     by_value
    .group_segment_fixed_size: 0
    .kernarg_segment_align: 8
    .kernarg_segment_size: 36
    .language:       OpenCL C
    .language_version:
      - 2
      - 0
    .max_flat_workgroup_size: 1024
    .name:           _Z18scatterAdd2_kernelPKiPKfPfiii
    .private_segment_fixed_size: 0
    .sgpr_count:     22
    .sgpr_spill_count: 0
    .symbol:         _Z18scatterAdd2_kernelPKiPKfPfiii.kd
    .uniform_work_group_size: 1
    .uses_dynamic_stack: false
    .vgpr_count:     22
    .vgpr_spill_count: 0
    .wavefront_size: 32
amdhsa.target:   amdgcn-amd-amdhsa--gfx1250
amdhsa.version:
  - 1
  - 2
...

	.end_amdgpu_metadata
